;; amdgpu-corpus repo=ROCm/rocFFT kind=compiled arch=gfx906 opt=O3
	.text
	.amdgcn_target "amdgcn-amd-amdhsa--gfx906"
	.amdhsa_code_object_version 6
	.protected	fft_rtc_back_len78_factors_6_13_wgs_247_tpt_13_half_ip_CI_unitstride_sbrr_dirReg ; -- Begin function fft_rtc_back_len78_factors_6_13_wgs_247_tpt_13_half_ip_CI_unitstride_sbrr_dirReg
	.globl	fft_rtc_back_len78_factors_6_13_wgs_247_tpt_13_half_ip_CI_unitstride_sbrr_dirReg
	.p2align	8
	.type	fft_rtc_back_len78_factors_6_13_wgs_247_tpt_13_half_ip_CI_unitstride_sbrr_dirReg,@function
fft_rtc_back_len78_factors_6_13_wgs_247_tpt_13_half_ip_CI_unitstride_sbrr_dirReg: ; @fft_rtc_back_len78_factors_6_13_wgs_247_tpt_13_half_ip_CI_unitstride_sbrr_dirReg
; %bb.0:
	s_load_dwordx2 s[2:3], s[4:5], 0x50
	s_load_dwordx4 s[8:11], s[4:5], 0x0
	s_load_dwordx2 s[12:13], s[4:5], 0x18
	v_mul_u32_u24_e32 v1, 0x13b2, v0
	v_lshrrev_b32_e32 v1, 16, v1
	v_mad_u64_u32 v[1:2], s[0:1], s6, 19, v[1:2]
	v_mov_b32_e32 v5, 0
	s_waitcnt lgkmcnt(0)
	v_cmp_lt_u64_e64 s[0:1], s[10:11], 2
	v_mov_b32_e32 v2, v5
	v_mov_b32_e32 v3, 0
	;; [unrolled: 1-line block ×3, first 2 shown]
	s_and_b64 vcc, exec, s[0:1]
	v_mov_b32_e32 v4, 0
	v_mov_b32_e32 v9, v1
	s_cbranch_vccnz .LBB0_8
; %bb.1:
	s_load_dwordx2 s[0:1], s[4:5], 0x10
	s_add_u32 s6, s12, 8
	s_addc_u32 s7, s13, 0
	v_mov_b32_e32 v3, 0
	v_mov_b32_e32 v8, v2
	s_waitcnt lgkmcnt(0)
	s_add_u32 s16, s0, 8
	s_mov_b64 s[14:15], 1
	v_mov_b32_e32 v4, 0
	s_addc_u32 s17, s1, 0
	v_mov_b32_e32 v7, v1
.LBB0_2:                                ; =>This Inner Loop Header: Depth=1
	s_load_dwordx2 s[18:19], s[16:17], 0x0
                                        ; implicit-def: $vgpr9_vgpr10
	s_waitcnt lgkmcnt(0)
	v_or_b32_e32 v6, s19, v8
	v_cmp_ne_u64_e32 vcc, 0, v[5:6]
	s_and_saveexec_b64 s[0:1], vcc
	s_xor_b64 s[20:21], exec, s[0:1]
	s_cbranch_execz .LBB0_4
; %bb.3:                                ;   in Loop: Header=BB0_2 Depth=1
	v_cvt_f32_u32_e32 v2, s18
	v_cvt_f32_u32_e32 v6, s19
	s_sub_u32 s0, 0, s18
	s_subb_u32 s1, 0, s19
	v_mac_f32_e32 v2, 0x4f800000, v6
	v_rcp_f32_e32 v2, v2
	v_mul_f32_e32 v2, 0x5f7ffffc, v2
	v_mul_f32_e32 v6, 0x2f800000, v2
	v_trunc_f32_e32 v6, v6
	v_mac_f32_e32 v2, 0xcf800000, v6
	v_cvt_u32_f32_e32 v6, v6
	v_cvt_u32_f32_e32 v2, v2
	v_mul_lo_u32 v9, s0, v6
	v_mul_hi_u32 v10, s0, v2
	v_mul_lo_u32 v12, s1, v2
	v_mul_lo_u32 v11, s0, v2
	v_add_u32_e32 v9, v10, v9
	v_add_u32_e32 v9, v9, v12
	v_mul_hi_u32 v10, v2, v11
	v_mul_lo_u32 v12, v2, v9
	v_mul_hi_u32 v14, v2, v9
	v_mul_hi_u32 v13, v6, v11
	v_mul_lo_u32 v11, v6, v11
	v_mul_hi_u32 v15, v6, v9
	v_add_co_u32_e32 v10, vcc, v10, v12
	v_addc_co_u32_e32 v12, vcc, 0, v14, vcc
	v_mul_lo_u32 v9, v6, v9
	v_add_co_u32_e32 v10, vcc, v10, v11
	v_addc_co_u32_e32 v10, vcc, v12, v13, vcc
	v_addc_co_u32_e32 v11, vcc, 0, v15, vcc
	v_add_co_u32_e32 v9, vcc, v10, v9
	v_addc_co_u32_e32 v10, vcc, 0, v11, vcc
	v_add_co_u32_e32 v2, vcc, v2, v9
	v_addc_co_u32_e32 v6, vcc, v6, v10, vcc
	v_mul_lo_u32 v9, s0, v6
	v_mul_hi_u32 v10, s0, v2
	v_mul_lo_u32 v11, s1, v2
	v_mul_lo_u32 v12, s0, v2
	v_add_u32_e32 v9, v10, v9
	v_add_u32_e32 v9, v9, v11
	v_mul_lo_u32 v13, v2, v9
	v_mul_hi_u32 v14, v2, v12
	v_mul_hi_u32 v15, v2, v9
	;; [unrolled: 1-line block ×3, first 2 shown]
	v_mul_lo_u32 v12, v6, v12
	v_mul_hi_u32 v10, v6, v9
	v_add_co_u32_e32 v13, vcc, v14, v13
	v_addc_co_u32_e32 v14, vcc, 0, v15, vcc
	v_mul_lo_u32 v9, v6, v9
	v_add_co_u32_e32 v12, vcc, v13, v12
	v_addc_co_u32_e32 v11, vcc, v14, v11, vcc
	v_addc_co_u32_e32 v10, vcc, 0, v10, vcc
	v_add_co_u32_e32 v9, vcc, v11, v9
	v_addc_co_u32_e32 v10, vcc, 0, v10, vcc
	v_add_co_u32_e32 v2, vcc, v2, v9
	v_addc_co_u32_e32 v6, vcc, v6, v10, vcc
	v_mad_u64_u32 v[9:10], s[0:1], v7, v6, 0
	v_mul_hi_u32 v11, v7, v2
	v_add_co_u32_e32 v13, vcc, v11, v9
	v_addc_co_u32_e32 v14, vcc, 0, v10, vcc
	v_mad_u64_u32 v[9:10], s[0:1], v8, v2, 0
	v_mad_u64_u32 v[11:12], s[0:1], v8, v6, 0
	v_add_co_u32_e32 v2, vcc, v13, v9
	v_addc_co_u32_e32 v2, vcc, v14, v10, vcc
	v_addc_co_u32_e32 v6, vcc, 0, v12, vcc
	v_add_co_u32_e32 v2, vcc, v2, v11
	v_addc_co_u32_e32 v6, vcc, 0, v6, vcc
	v_mul_lo_u32 v11, s19, v2
	v_mul_lo_u32 v12, s18, v6
	v_mad_u64_u32 v[9:10], s[0:1], s18, v2, 0
	v_add3_u32 v10, v10, v12, v11
	v_sub_u32_e32 v11, v8, v10
	v_mov_b32_e32 v12, s19
	v_sub_co_u32_e32 v9, vcc, v7, v9
	v_subb_co_u32_e64 v11, s[0:1], v11, v12, vcc
	v_subrev_co_u32_e64 v12, s[0:1], s18, v9
	v_subbrev_co_u32_e64 v11, s[0:1], 0, v11, s[0:1]
	v_cmp_le_u32_e64 s[0:1], s19, v11
	v_cndmask_b32_e64 v13, 0, -1, s[0:1]
	v_cmp_le_u32_e64 s[0:1], s18, v12
	v_cndmask_b32_e64 v12, 0, -1, s[0:1]
	v_cmp_eq_u32_e64 s[0:1], s19, v11
	v_cndmask_b32_e64 v11, v13, v12, s[0:1]
	v_add_co_u32_e64 v12, s[0:1], 2, v2
	v_addc_co_u32_e64 v13, s[0:1], 0, v6, s[0:1]
	v_add_co_u32_e64 v14, s[0:1], 1, v2
	v_addc_co_u32_e64 v15, s[0:1], 0, v6, s[0:1]
	v_subb_co_u32_e32 v10, vcc, v8, v10, vcc
	v_cmp_ne_u32_e64 s[0:1], 0, v11
	v_cmp_le_u32_e32 vcc, s19, v10
	v_cndmask_b32_e64 v11, v15, v13, s[0:1]
	v_cndmask_b32_e64 v13, 0, -1, vcc
	v_cmp_le_u32_e32 vcc, s18, v9
	v_cndmask_b32_e64 v9, 0, -1, vcc
	v_cmp_eq_u32_e32 vcc, s19, v10
	v_cndmask_b32_e32 v9, v13, v9, vcc
	v_cmp_ne_u32_e32 vcc, 0, v9
	v_cndmask_b32_e32 v10, v6, v11, vcc
	v_cndmask_b32_e64 v6, v14, v12, s[0:1]
	v_cndmask_b32_e32 v9, v2, v6, vcc
.LBB0_4:                                ;   in Loop: Header=BB0_2 Depth=1
	s_andn2_saveexec_b64 s[0:1], s[20:21]
	s_cbranch_execz .LBB0_6
; %bb.5:                                ;   in Loop: Header=BB0_2 Depth=1
	v_cvt_f32_u32_e32 v2, s18
	s_sub_i32 s20, 0, s18
	v_rcp_iflag_f32_e32 v2, v2
	v_mul_f32_e32 v2, 0x4f7ffffe, v2
	v_cvt_u32_f32_e32 v2, v2
	v_mul_lo_u32 v6, s20, v2
	v_mul_hi_u32 v6, v2, v6
	v_add_u32_e32 v2, v2, v6
	v_mul_hi_u32 v2, v7, v2
	v_mul_lo_u32 v6, v2, s18
	v_add_u32_e32 v9, 1, v2
	v_sub_u32_e32 v6, v7, v6
	v_subrev_u32_e32 v10, s18, v6
	v_cmp_le_u32_e32 vcc, s18, v6
	v_cndmask_b32_e32 v6, v6, v10, vcc
	v_cndmask_b32_e32 v2, v2, v9, vcc
	v_add_u32_e32 v9, 1, v2
	v_cmp_le_u32_e32 vcc, s18, v6
	v_cndmask_b32_e32 v9, v2, v9, vcc
	v_mov_b32_e32 v10, v5
.LBB0_6:                                ;   in Loop: Header=BB0_2 Depth=1
	s_or_b64 exec, exec, s[0:1]
	v_mul_lo_u32 v2, v10, s18
	v_mul_lo_u32 v6, v9, s19
	v_mad_u64_u32 v[11:12], s[0:1], v9, s18, 0
	s_load_dwordx2 s[0:1], s[6:7], 0x0
	s_add_u32 s14, s14, 1
	v_add3_u32 v2, v12, v6, v2
	v_sub_co_u32_e32 v6, vcc, v7, v11
	v_subb_co_u32_e32 v2, vcc, v8, v2, vcc
	s_waitcnt lgkmcnt(0)
	v_mul_lo_u32 v2, s0, v2
	v_mul_lo_u32 v7, s1, v6
	v_mad_u64_u32 v[3:4], s[0:1], s0, v6, v[3:4]
	s_addc_u32 s15, s15, 0
	s_add_u32 s6, s6, 8
	v_add3_u32 v4, v7, v4, v2
	v_mov_b32_e32 v6, s10
	v_mov_b32_e32 v7, s11
	s_addc_u32 s7, s7, 0
	v_cmp_ge_u64_e32 vcc, s[14:15], v[6:7]
	s_add_u32 s16, s16, 8
	s_addc_u32 s17, s17, 0
	s_cbranch_vccnz .LBB0_8
; %bb.7:                                ;   in Loop: Header=BB0_2 Depth=1
	v_mov_b32_e32 v7, v9
	v_mov_b32_e32 v8, v10
	s_branch .LBB0_2
.LBB0_8:
	s_lshl_b64 s[0:1], s[10:11], 3
	s_add_u32 s0, s12, s0
	s_addc_u32 s1, s13, s1
	s_load_dwordx2 s[6:7], s[0:1], 0x0
	s_load_dwordx2 s[10:11], s[4:5], 0x20
                                        ; implicit-def: $vgpr7
	s_waitcnt lgkmcnt(0)
	v_mad_u64_u32 v[2:3], s[0:1], s6, v9, v[3:4]
	v_mul_lo_u32 v5, s6, v10
	v_mul_lo_u32 v6, s7, v9
	s_mov_b32 s0, 0x13b13b14
	v_mul_hi_u32 v4, v0, s0
	v_cmp_gt_u64_e32 vcc, s[10:11], v[9:10]
	v_add3_u32 v3, v6, v3, v5
	v_lshlrev_b64 v[14:15], 2, v[2:3]
	v_mul_u32_u24_e32 v4, 13, v4
	v_sub_u32_e32 v12, v0, v4
                                        ; implicit-def: $vgpr3
                                        ; implicit-def: $vgpr5
                                        ; implicit-def: $vgpr2
                                        ; implicit-def: $vgpr4
                                        ; implicit-def: $vgpr6
	s_and_saveexec_b64 s[4:5], vcc
	s_cbranch_execz .LBB0_10
; %bb.9:
	v_mov_b32_e32 v13, 0
	v_mov_b32_e32 v0, s3
	v_add_co_u32_e64 v4, s[0:1], s2, v14
	v_lshlrev_b64 v[2:3], 2, v[12:13]
	v_addc_co_u32_e64 v0, s[0:1], v0, v15, s[0:1]
	v_add_co_u32_e64 v8, s[0:1], v4, v2
	v_addc_co_u32_e64 v9, s[0:1], v0, v3, s[0:1]
	global_load_dword v3, v[8:9], off
	global_load_dword v2, v[8:9], off offset:52
	global_load_dword v5, v[8:9], off offset:104
	;; [unrolled: 1-line block ×5, first 2 shown]
.LBB0_10:
	s_or_b64 exec, exec, s[4:5]
	s_mov_b32 s0, 0xaf286bcb
	v_mul_hi_u32 v0, v1, s0
	s_waitcnt vmcnt(3)
	v_pk_add_f16 v8, v3, v5
	s_movk_i32 s0, 0x3aee
	s_waitcnt vmcnt(1)
	v_pk_add_f16 v8, v8, v7
	v_sub_u32_e32 v11, v1, v0
	v_lshrrev_b32_e32 v11, 1, v11
	v_add_u32_e32 v0, v11, v0
	v_pk_add_f16 v11, v5, v7
	v_pk_fma_f16 v3, v11, 0.5, v3 op_sel_hi:[1,0,1] neg_lo:[1,0,0] neg_hi:[1,0,0]
	v_pk_add_f16 v5, v5, v7 neg_lo:[0,1] neg_hi:[0,1]
	v_pk_fma_f16 v7, v5, s0, v3 op_sel:[0,0,1] op_sel_hi:[1,0,0] neg_lo:[1,0,0] neg_hi:[1,0,0]
	v_pk_fma_f16 v3, v5, s0, v3 op_sel:[0,0,1] op_sel_hi:[1,0,0]
	s_waitcnt vmcnt(0)
	v_pk_add_f16 v5, v4, v6
	v_pk_add_f16 v9, v2, v4
	v_lshrrev_b32_e32 v0, 4, v0
	v_pk_fma_f16 v2, v5, 0.5, v2 op_sel_hi:[1,0,1] neg_lo:[1,0,0] neg_hi:[1,0,0]
	v_pk_add_f16 v4, v4, v6 neg_lo:[0,1] neg_hi:[0,1]
	v_mul_lo_u32 v0, v0, 19
	v_pk_fma_f16 v5, v4, s0, v2 op_sel:[0,0,1] op_sel_hi:[1,0,0]
	v_pk_fma_f16 v2, v4, s0, v2 op_sel:[0,0,1] op_sel_hi:[1,0,0] neg_lo:[1,0,0] neg_hi:[1,0,0]
	v_pk_add_f16 v9, v9, v6
	v_lshrrev_b32_e32 v4, 16, v2
	v_mul_f16_e32 v6, 0x3aee, v5
	v_fma_f16 v4, v4, 0.5, -v6
	v_pk_mul_f16 v6, v2, s0 op_sel_hi:[1,0]
	s_mov_b32 s1, 0xb8003800
	v_pk_fma_f16 v11, v5, s1, v6 op_sel:[0,0,1] op_sel_hi:[1,1,0]
	v_pk_fma_f16 v6, v5, s1, v6 op_sel:[0,0,1] op_sel_hi:[1,1,0] neg_lo:[0,0,1] neg_hi:[0,0,1]
	s_mov_b32 s1, 0xffff
	v_lshrrev_b32_e32 v5, 16, v5
	v_mul_f16_e32 v2, -0.5, v2
	v_mul_u32_u24_e32 v10, 6, v12
	v_sub_u32_e32 v0, v1, v0
	v_bfi_b32 v13, s1, v11, v6
	v_fma_f16 v2, v5, s0, v2
	v_mul_u32_u24_e32 v1, 0x4e, v0
	v_lshl_add_u32 v0, v10, 2, 0
	v_add_f16_sdwa v16, v7, v4 dst_sel:DWORD dst_unused:UNUSED_PAD src0_sel:WORD_1 src1_sel:DWORD
	v_pk_add_f16 v29, v3, v13
	v_add_f16_e32 v30, v7, v2
	v_lshl_add_u32 v10, v1, 2, v0
	v_alignbit_b32 v5, v30, v29, 16
	v_pack_b32_f16 v13, v16, v29
	ds_write2_b32 v10, v13, v5 offset0:1 offset1:2
	v_alignbit_b32 v5, v3, v7, 16
	v_pack_b32_f16 v4, v4, v11
	v_alignbit_b32 v3, v7, v3, 16
	v_alignbit_b32 v2, v2, v6, 16
	v_pk_add_f16 v18, v8, v9 neg_lo:[0,1] neg_hi:[0,1]
	v_pk_add_f16 v19, v5, v4 neg_lo:[0,1] neg_hi:[0,1]
	;; [unrolled: 1-line block ×3, first 2 shown]
	v_pk_add_f16 v28, v8, v9
	v_lshrrev_b32_e32 v17, 16, v29
	v_lshrrev_b32_e32 v33, 16, v18
	v_lshrrev_b32_e32 v34, 16, v19
	v_cmp_gt_u32_e64 s[0:1], 6, v12
	v_lshrrev_b32_e32 v37, 16, v20
	ds_write2_b32 v10, v18, v19 offset0:3 offset1:4
	ds_write2_b32 v10, v28, v20 offset1:5
	s_waitcnt lgkmcnt(0)
	s_barrier
	s_waitcnt lgkmcnt(0)
                                        ; implicit-def: $vgpr39
                                        ; implicit-def: $vgpr38
                                        ; implicit-def: $vgpr35
                                        ; implicit-def: $vgpr36
                                        ; implicit-def: $vgpr32
                                        ; implicit-def: $vgpr31
                                        ; implicit-def: $vgpr40
                                        ; implicit-def: $vgpr27
                                        ; implicit-def: $vgpr25
                                        ; implicit-def: $vgpr23
	s_and_saveexec_b64 s[4:5], s[0:1]
	s_cbranch_execnz .LBB0_13
; %bb.11:
	s_or_b64 exec, exec, s[4:5]
	s_and_b64 s[0:1], vcc, s[0:1]
	s_and_saveexec_b64 s[4:5], s[0:1]
	s_cbranch_execnz .LBB0_14
.LBB0_12:
	s_endpgm
.LBB0_13:
	v_lshlrev_b32_e32 v1, 2, v1
	v_lshlrev_b32_e32 v2, 2, v12
	v_add3_u32 v2, 0, v1, v2
	ds_read_b32 v28, v2
	v_mul_i32_i24_e32 v2, 0xffffffec, v12
	v_add3_u32 v0, v0, v2, v1
	ds_read2_b32 v[16:17], v0 offset0:6 offset1:12
	ds_read2_b32 v[22:23], v0 offset0:42 offset1:48
	;; [unrolled: 1-line block ×6, first 2 shown]
	s_waitcnt lgkmcnt(4)
	v_lshrrev_b32_e32 v31, 16, v22
	v_lshrrev_b32_e32 v32, 16, v23
	s_waitcnt lgkmcnt(2)
	v_lshrrev_b32_e32 v36, 16, v24
	v_lshrrev_b32_e32 v35, 16, v25
	;; [unrolled: 3-line block ×3, first 2 shown]
	v_lshrrev_b32_e32 v29, 16, v16
	v_lshrrev_b32_e32 v30, 16, v17
	;; [unrolled: 1-line block ×6, first 2 shown]
	s_or_b64 exec, exec, s[4:5]
	s_and_b64 s[0:1], vcc, s[0:1]
	s_and_saveexec_b64 s[4:5], s[0:1]
	s_cbranch_execz .LBB0_12
.LBB0_14:
	s_movk_i32 s0, 0xab
	v_mul_lo_u16_sdwa v0, v12, s0 dst_sel:DWORD dst_unused:UNUSED_PAD src0_sel:BYTE_0 src1_sel:DWORD
	v_lshrrev_b16_e32 v0, 10, v0
	v_mul_lo_u16_e32 v0, 6, v0
	v_sub_u16_e32 v0, v12, v0
	v_mul_lo_u16_e32 v0, 12, v0
	v_and_b32_e32 v0, 0xfc, v0
	v_lshlrev_b32_e32 v13, 2, v0
	global_load_dwordx4 v[0:3], v13, s[8:9] offset:32
	global_load_dwordx4 v[8:11], v13, s[8:9]
	global_load_dwordx4 v[4:7], v13, s[8:9] offset:16
	v_mov_b32_e32 v13, 0
	v_mov_b32_e32 v41, s3
	v_add_co_u32_e32 v14, vcc, s2, v14
	v_lshlrev_b64 v[12:13], 2, v[12:13]
	v_addc_co_u32_e32 v15, vcc, v41, v15, vcc
	v_add_co_u32_e32 v12, vcc, v14, v12
	v_addc_co_u32_e32 v13, vcc, v15, v13, vcc
	s_movk_i32 s4, 0x33a8
	s_mov_b32 s0, 0xb770
	s_movk_i32 s3, 0x394e
	s_mov_b32 s1, 0xba95
	;; [unrolled: 2-line block ×3, first 2 shown]
	s_mov_b32 s2, 0xbbc4
	s_movk_i32 s6, 0x3b15
	s_mov_b32 s8, 0xb9fd
	s_movk_i32 s9, 0x388b
	;; [unrolled: 2-line block ×3, first 2 shown]
	s_movk_i32 s15, 0x3a95
	s_mov_b32 s12, 0xb3a8
	s_mov_b32 s13, 0xb94e
	s_movk_i32 s14, 0x3bf1
	s_movk_i32 s17, 0x3770
	s_mov_b32 s16, 0xbb7b
	s_waitcnt vmcnt(2)
	v_mul_f16_sdwa v14, v39, v3 dst_sel:DWORD dst_unused:UNUSED_PAD src0_sel:DWORD src1_sel:WORD_1
	v_mul_f16_sdwa v41, v27, v3 dst_sel:DWORD dst_unused:UNUSED_PAD src0_sel:DWORD src1_sel:WORD_1
	s_waitcnt vmcnt(1)
	v_mul_f16_sdwa v47, v29, v8 dst_sel:DWORD dst_unused:UNUSED_PAD src0_sel:DWORD src1_sel:WORD_1
	v_mul_f16_sdwa v49, v16, v8 dst_sel:DWORD dst_unused:UNUSED_PAD src0_sel:DWORD src1_sel:WORD_1
	;; [unrolled: 1-line block ×6, first 2 shown]
	v_fma_f16 v14, v27, v3, v14
	v_fma_f16 v3, v39, v3, -v41
	v_fma_f16 v16, v16, v8, v47
	v_fma_f16 v8, v29, v8, -v49
	v_mul_f16_sdwa v43, v35, v1 dst_sel:DWORD dst_unused:UNUSED_PAD src0_sel:DWORD src1_sel:WORD_1
	v_mul_f16_sdwa v44, v36, v0 dst_sel:DWORD dst_unused:UNUSED_PAD src0_sel:DWORD src1_sel:WORD_1
	;; [unrolled: 1-line block ×6, first 2 shown]
	v_fma_f16 v15, v26, v2, v15
	v_fma_f16 v2, v38, v2, -v42
	v_fma_f16 v17, v17, v9, v48
	v_fma_f16 v9, v30, v9, -v50
	v_add_f16_e32 v26, v3, v8
	v_mul_f16_sdwa v52, v34, v11 dst_sel:DWORD dst_unused:UNUSED_PAD src0_sel:DWORD src1_sel:WORD_1
	v_mul_f16_sdwa v54, v19, v11 dst_sel:DWORD dst_unused:UNUSED_PAD src0_sel:DWORD src1_sel:WORD_1
	s_waitcnt vmcnt(0)
	v_mul_f16_sdwa v56, v31, v6 dst_sel:DWORD dst_unused:UNUSED_PAD src0_sel:DWORD src1_sel:WORD_1
	v_mul_f16_sdwa v58, v22, v6 dst_sel:DWORD dst_unused:UNUSED_PAD src0_sel:DWORD src1_sel:WORD_1
	;; [unrolled: 1-line block ×4, first 2 shown]
	v_fma_f16 v25, v25, v1, v43
	v_fma_f16 v24, v24, v0, v44
	v_fma_f16 v1, v35, v1, -v45
	v_fma_f16 v0, v36, v0, -v46
	v_fma_f16 v18, v18, v10, v51
	v_fma_f16 v10, v33, v10, -v53
	v_sub_f16_e32 v27, v16, v14
	v_add_f16_e32 v29, v2, v9
	v_mul_f16_e32 v36, 0xbbc4, v26
	v_mul_f16_sdwa v55, v32, v7 dst_sel:DWORD dst_unused:UNUSED_PAD src0_sel:DWORD src1_sel:WORD_1
	v_mul_f16_sdwa v57, v23, v7 dst_sel:DWORD dst_unused:UNUSED_PAD src0_sel:DWORD src1_sel:WORD_1
	v_fma_f16 v19, v19, v11, v52
	v_fma_f16 v11, v34, v11, -v54
	v_fma_f16 v22, v22, v6, v56
	v_fma_f16 v20, v20, v4, v59
	v_fma_f16 v4, v37, v4, -v61
	v_fma_f16 v6, v31, v6, -v58
	v_sub_f16_e32 v30, v17, v15
	v_add_f16_e32 v31, v1, v10
	v_mul_f16_e32 v37, 0x3b15, v29
	v_fma_f16 v41, v27, s4, v36
	v_fma_f16 v23, v23, v7, v55
	v_fma_f16 v7, v32, v7, -v57
	v_sub_f16_e32 v32, v18, v25
	v_add_f16_e32 v33, v0, v11
	v_mul_f16_e32 v38, 0xb9fd, v31
	v_fma_f16 v42, v30, s0, v37
	v_add_f16_sdwa v41, v28, v41 dst_sel:DWORD dst_unused:UNUSED_PAD src0_sel:WORD_1 src1_sel:DWORD
	v_mul_f16_sdwa v60, v40, v5 dst_sel:DWORD dst_unused:UNUSED_PAD src0_sel:DWORD src1_sel:WORD_1
	v_mul_f16_sdwa v62, v21, v5 dst_sel:DWORD dst_unused:UNUSED_PAD src0_sel:DWORD src1_sel:WORD_1
	v_sub_f16_e32 v34, v19, v24
	v_add_f16_e32 v35, v7, v4
	v_mul_f16_e32 v39, 0x388b, v33
	v_fma_f16 v43, v32, s3, v38
	v_add_f16_e32 v41, v41, v42
	v_fma_f16 v21, v21, v5, v60
	v_fma_f16 v5, v40, v5, -v62
	v_mul_f16_e32 v40, 0xb5ac, v35
	v_fma_f16 v44, v34, s1, v39
	v_add_f16_e32 v41, v41, v43
	v_sub_f16_e32 v42, v20, v23
	v_add_f16_e32 v41, v41, v44
	v_fma_f16 v43, v42, s5, v40
	v_add_f16_e32 v41, v41, v43
	v_add_f16_e32 v43, v6, v5
	v_mul_f16_e32 v44, 0x2fb7, v43
	v_sub_f16_e32 v45, v21, v22
	v_fma_f16 v46, v45, s7, v44
	v_sub_f16_e32 v47, v8, v3
	v_add_f16_e32 v41, v41, v46
	v_add_f16_e32 v46, v14, v16
	v_mul_f16_e32 v48, 0xb3a8, v47
	v_sub_f16_e32 v51, v9, v2
	v_fma_f16 v49, v46, s2, v48
	v_add_f16_e32 v50, v15, v17
	v_mul_f16_e32 v52, 0x3770, v51
	v_add_f16_e32 v49, v28, v49
	v_fma_f16 v53, v50, s6, v52
	v_sub_f16_e32 v54, v10, v1
	v_add_f16_e32 v49, v49, v53
	v_add_f16_e32 v53, v25, v18
	v_mul_f16_e32 v55, 0xb94e, v54
	v_fma_f16 v56, v53, s8, v55
	v_sub_f16_e32 v57, v11, v0
	v_add_f16_e32 v49, v49, v56
	v_add_f16_e32 v56, v24, v19
	v_mul_f16_e32 v58, 0x3a95, v57
	;; [unrolled: 5-line block ×4, first 2 shown]
	v_fma_f16 v65, v62, s11, v64
	v_add_f16_e32 v49, v49, v65
	v_mul_f16_e32 v65, 0xb9fd, v26
	v_fma_f16 v66, v27, s3, v65
	v_mul_f16_e32 v67, 0x2fb7, v29
	v_add_f16_sdwa v66, v28, v66 dst_sel:DWORD dst_unused:UNUSED_PAD src0_sel:WORD_1 src1_sel:DWORD
	v_fma_f16 v68, v30, s7, v67
	v_add_f16_e32 v66, v66, v68
	v_mul_f16_e32 v68, 0x388b, v31
	v_fma_f16 v69, v32, s15, v68
	v_add_f16_e32 v66, v66, v69
	v_mul_f16_e32 v69, 0xbbc4, v33
	;; [unrolled: 3-line block ×5, first 2 shown]
	v_fma_f16 v73, v46, s8, v72
	v_mul_f16_e32 v74, 0x3bf1, v51
	v_add_f16_e32 v73, v28, v73
	v_fma_f16 v75, v50, s11, v74
	v_add_f16_e32 v73, v73, v75
	v_mul_f16_e32 v75, 0xba95, v54
	v_fma_f16 v76, v53, s9, v75
	v_add_f16_e32 v73, v73, v76
	v_mul_f16_e32 v76, 0x33a8, v57
	;; [unrolled: 3-line block ×5, first 2 shown]
	v_fma_f16 v80, v27, s5, v79
	v_mul_f16_e32 v81, 0xb9fd, v29
	v_add_f16_sdwa v80, v28, v80 dst_sel:DWORD dst_unused:UNUSED_PAD src0_sel:WORD_1 src1_sel:DWORD
	v_fma_f16 v82, v30, s13, v81
	v_add_f16_e32 v80, v80, v82
	v_mul_f16_e32 v82, 0x3b15, v31
	v_fma_f16 v83, v32, s0, v82
	v_add_f16_e32 v80, v80, v83
	v_mul_f16_e32 v83, 0x2fb7, v33
	;; [unrolled: 3-line block ×3, first 2 shown]
	v_fma_f16 v85, v42, s12, v84
	v_add_f16_sdwa v8, v28, v8 dst_sel:DWORD dst_unused:UNUSED_PAD src0_sel:WORD_1 src1_sel:DWORD
	v_add_f16_e32 v80, v80, v85
	v_mul_f16_e32 v85, 0x388b, v43
	v_add_f16_e32 v8, v8, v9
	v_fma_f16 v86, v45, s1, v85
	v_add_f16_e32 v8, v8, v10
	v_add_f16_e32 v80, v80, v86
	v_mul_f16_e32 v86, 0xbb7b, v47
	v_add_f16_e32 v8, v8, v11
	v_fma_f16 v87, v46, s10, v86
	v_mul_f16_e32 v88, 0x394e, v51
	v_add_f16_e32 v4, v8, v4
	v_add_f16_e32 v87, v28, v87
	v_fma_f16 v89, v50, s8, v88
	v_add_f16_e32 v4, v4, v5
	v_add_f16_e32 v87, v87, v89
	v_mul_f16_e32 v89, 0x3770, v54
	v_add_f16_e32 v4, v6, v4
	v_fma_f16 v90, v53, s6, v89
	v_add_f16_e32 v4, v7, v4
	v_add_f16_e32 v87, v87, v90
	v_mul_f16_e32 v90, 0xbbf1, v57
	v_add_f16_e32 v0, v0, v4
	v_fma_f16 v91, v56, s11, v90
	v_add_f16_e32 v0, v1, v0
	v_fma_f16 v1, v27, s12, v36
	v_add_f16_e32 v87, v87, v91
	v_mul_f16_e32 v91, 0x33a8, v60
	v_add_f16_e32 v0, v2, v0
	v_add_f16_sdwa v1, v28, v1 dst_sel:DWORD dst_unused:UNUSED_PAD src0_sel:WORD_1 src1_sel:DWORD
	v_fma_f16 v2, v30, s17, v37
	v_fma_f16 v92, v59, s2, v91
	v_add_f16_e32 v1, v1, v2
	v_fma_f16 v2, v32, s13, v38
	v_add_f16_e32 v87, v87, v92
	v_mul_f16_e32 v92, 0x3a95, v63
	v_add_f16_e32 v1, v1, v2
	v_fma_f16 v2, v34, s15, v39
	v_fma_f16 v93, v62, s9, v92
	v_add_f16_e32 v1, v1, v2
	v_fma_f16 v2, v42, s16, v40
	v_add_f16_e32 v87, v87, v93
	v_mul_f16_e32 v93, 0x2fb7, v26
	v_add_f16_e32 v1, v1, v2
	v_fma_f16 v2, v45, s14, v44
	v_fma_f16 v94, v27, s14, v93
	v_mul_f16_e32 v95, 0xbbc4, v29
	v_add_f16_e32 v1, v1, v2
	v_fma_f16 v2, v46, s2, -v48
	v_add_f16_sdwa v94, v28, v94 dst_sel:DWORD dst_unused:UNUSED_PAD src0_sel:WORD_1 src1_sel:DWORD
	v_fma_f16 v96, v30, s4, v95
	v_add_f16_e32 v0, v3, v0
	v_add_f16_e32 v2, v28, v2
	v_fma_f16 v3, v50, s6, -v52
	v_add_f16_e32 v94, v94, v96
	v_mul_f16_e32 v96, 0xb5ac, v31
	v_add_f16_e32 v2, v2, v3
	v_fma_f16 v3, v53, s8, -v55
	v_fma_f16 v97, v32, s16, v96
	v_add_f16_e32 v2, v2, v3
	v_fma_f16 v3, v56, s9, -v58
	v_add_f16_e32 v94, v94, v97
	v_mul_f16_e32 v97, 0x3b15, v33
	v_add_f16_e32 v2, v2, v3
	v_fma_f16 v3, v59, s10, -v61
	v_fma_f16 v98, v34, s0, v97
	v_add_f16_e32 v2, v2, v3
	v_fma_f16 v3, v62, s11, -v64
	v_add_f16_e32 v94, v94, v98
	v_mul_f16_e32 v98, 0x388b, v35
	v_add_f16_e32 v2, v2, v3
	v_fma_f16 v3, v27, s13, v65
	v_fma_f16 v99, v42, s15, v98
	v_add_f16_sdwa v3, v28, v3 dst_sel:DWORD dst_unused:UNUSED_PAD src0_sel:WORD_1 src1_sel:DWORD
	v_fma_f16 v4, v30, s14, v67
	v_add_f16_e32 v94, v94, v99
	v_mul_f16_e32 v99, 0xb9fd, v43
	v_add_f16_e32 v3, v3, v4
	v_fma_f16 v4, v32, s1, v68
	v_fma_f16 v100, v45, s3, v99
	v_add_f16_e32 v3, v3, v4
	v_fma_f16 v4, v34, s4, v69
	v_add_f16_e32 v94, v94, v100
	v_mul_f16_e32 v100, 0xbbf1, v47
	v_add_f16_e32 v3, v3, v4
	v_fma_f16 v4, v42, s17, v70
	v_fma_f16 v101, v46, s11, v100
	v_mul_f16_e32 v102, 0xb3a8, v51
	v_add_f16_e32 v3, v3, v4
	v_fma_f16 v4, v45, s16, v71
	v_add_f16_e32 v101, v28, v101
	v_fma_f16 v103, v50, s2, v102
	v_add_f16_e32 v3, v3, v4
	v_fma_f16 v4, v46, s8, -v72
	v_add_f16_e32 v101, v101, v103
	v_mul_f16_e32 v103, 0x3b7b, v54
	v_add_f16_e32 v4, v28, v4
	v_fma_f16 v5, v50, s11, -v74
	v_fma_f16 v104, v53, s10, v103
	v_add_f16_e32 v4, v4, v5
	v_fma_f16 v5, v53, s9, -v75
	v_add_f16_e32 v101, v101, v104
	v_mul_f16_e32 v104, 0x3770, v57
	v_add_f16_e32 v4, v4, v5
	v_fma_f16 v5, v56, s2, -v76
	;; [unrolled: 7-line block ×3, first 2 shown]
	v_fma_f16 v106, v59, s9, v105
	v_add_f16_e32 v4, v4, v5
	v_fma_f16 v5, v27, s16, v79
	v_add_f16_e32 v101, v101, v106
	v_mul_f16_e32 v106, 0xb94e, v63
	v_add_f16_sdwa v5, v28, v5 dst_sel:DWORD dst_unused:UNUSED_PAD src0_sel:WORD_1 src1_sel:DWORD
	v_fma_f16 v6, v30, s3, v81
	v_fma_f16 v107, v62, s8, v106
	v_add_f16_e32 v5, v5, v6
	v_fma_f16 v6, v32, s17, v82
	v_add_f16_e32 v101, v101, v107
	v_mul_f16_e32 v107, 0x388b, v26
	v_add_f16_e32 v5, v5, v6
	v_fma_f16 v6, v34, s7, v83
	v_fma_f16 v108, v27, s15, v107
	v_mul_f16_e32 v109, 0xb5ac, v29
	v_add_f16_e32 v5, v5, v6
	v_fma_f16 v6, v42, s4, v84
	v_add_f16_sdwa v108, v28, v108 dst_sel:DWORD dst_unused:UNUSED_PAD src0_sel:WORD_1 src1_sel:DWORD
	v_fma_f16 v110, v30, s5, v109
	v_add_f16_e32 v5, v5, v6
	v_fma_f16 v6, v45, s15, v85
	v_add_f16_e32 v108, v108, v110
	v_mul_f16_e32 v110, 0xbbc4, v31
	v_add_f16_e32 v5, v5, v6
	v_fma_f16 v6, v46, s10, -v86
	v_fma_f16 v111, v32, s4, v110
	v_add_f16_e32 v6, v28, v6
	v_fma_f16 v7, v50, s8, -v88
	v_add_f16_e32 v108, v108, v111
	v_mul_f16_e32 v111, 0xb9fd, v33
	v_add_f16_e32 v6, v6, v7
	v_fma_f16 v7, v53, s6, -v89
	v_fma_f16 v112, v34, s13, v111
	v_add_f16_e32 v6, v6, v7
	v_fma_f16 v7, v56, s11, -v90
	;; [unrolled: 7-line block ×3, first 2 shown]
	v_add_f16_e32 v108, v108, v113
	v_mul_f16_e32 v113, 0x3b15, v43
	v_add_f16_e32 v6, v6, v7
	v_fma_f16 v7, v27, s7, v93
	v_fma_f16 v114, v45, s0, v113
	v_add_f16_sdwa v7, v28, v7 dst_sel:DWORD dst_unused:UNUSED_PAD src0_sel:WORD_1 src1_sel:DWORD
	v_fma_f16 v8, v30, s12, v95
	v_add_f16_e32 v108, v108, v114
	v_mul_f16_e32 v114, 0xba95, v47
	v_add_f16_e32 v7, v7, v8
	v_fma_f16 v8, v32, s5, v96
	v_fma_f16 v115, v46, s9, v114
	v_mul_f16_e32 v116, 0xbb7b, v51
	v_add_f16_e32 v7, v7, v8
	v_fma_f16 v8, v34, s17, v97
	v_add_f16_e32 v115, v28, v115
	v_fma_f16 v117, v50, s10, v116
	;; [unrolled: 2-line block ×3, first 2 shown]
	v_add_f16_e32 v115, v115, v117
	v_mul_f16_e32 v117, 0xb3a8, v54
	v_add_f16_e32 v7, v7, v8
	v_fma_f16 v8, v45, s13, v99
	v_fma_f16 v118, v53, s2, v117
	v_add_f16_e32 v7, v7, v8
	v_fma_f16 v8, v46, s11, -v100
	v_add_f16_e32 v115, v115, v118
	v_mul_f16_e32 v118, 0x394e, v57
	v_add_f16_e32 v8, v28, v8
	v_fma_f16 v9, v50, s2, -v102
	v_fma_f16 v119, v56, s8, v118
	v_add_f16_e32 v8, v8, v9
	v_fma_f16 v9, v53, s10, -v103
	v_add_f16_e32 v115, v115, v119
	v_mul_f16_e32 v119, 0x3bf1, v60
	v_add_f16_e32 v8, v8, v9
	v_fma_f16 v9, v56, s6, -v104
	;; [unrolled: 7-line block ×3, first 2 shown]
	v_fma_f16 v121, v62, s6, v120
	v_mul_f16_e32 v26, 0x3b15, v26
	v_add_f16_e32 v8, v8, v9
	v_fma_f16 v9, v27, s1, v107
	v_add_f16_e32 v115, v115, v121
	v_fma_f16 v121, v27, s17, v26
	v_mul_f16_e32 v29, 0x388b, v29
	v_add_f16_e32 v16, v28, v16
	v_add_f16_sdwa v9, v28, v9 dst_sel:DWORD dst_unused:UNUSED_PAD src0_sel:WORD_1 src1_sel:DWORD
	v_fma_f16 v10, v30, s16, v109
	v_add_f16_sdwa v121, v28, v121 dst_sel:DWORD dst_unused:UNUSED_PAD src0_sel:WORD_1 src1_sel:DWORD
	v_fma_f16 v122, v30, s15, v29
	v_mul_f16_e32 v31, 0x2fb7, v31
	v_add_f16_e32 v16, v16, v17
	v_add_f16_e32 v9, v9, v10
	v_fma_f16 v10, v32, s12, v110
	v_add_f16_e32 v121, v121, v122
	v_fma_f16 v122, v32, s14, v31
	v_mul_f16_e32 v33, 0xb5ac, v33
	v_add_f16_e32 v16, v16, v18
	v_add_f16_e32 v9, v9, v10
	v_fma_f16 v10, v34, s3, v111
	v_add_f16_e32 v121, v121, v122
	v_fma_f16 v122, v34, s5, v33
	v_mul_f16_e32 v35, 0xb9fd, v35
	v_add_f16_e32 v16, v16, v19
	v_add_f16_e32 v9, v9, v10
	v_fma_f16 v10, v42, s14, v112
	v_add_f16_e32 v121, v121, v122
	v_fma_f16 v122, v42, s3, v35
	v_mul_f16_e32 v43, 0xbbc4, v43
	v_add_f16_e32 v16, v16, v20
	v_add_f16_e32 v9, v9, v10
	v_fma_f16 v10, v45, s17, v113
	v_add_f16_e32 v121, v121, v122
	v_fma_f16 v122, v45, s4, v43
	v_mul_f16_e32 v47, 0xb770, v47
	v_add_f16_e32 v16, v16, v21
	v_add_f16_e32 v9, v9, v10
	v_fma_f16 v10, v46, s9, -v114
	v_add_f16_e32 v121, v121, v122
	v_fma_f16 v122, v46, s6, v47
	v_mul_f16_e32 v51, 0xba95, v51
	v_add_f16_e32 v16, v22, v16
	v_add_f16_e32 v10, v28, v10
	v_fma_f16 v11, v50, s10, -v116
	v_add_f16_e32 v122, v28, v122
	;; [unrolled: 6-line block ×6, first 2 shown]
	v_fma_f16 v123, v62, s2, v63
	v_add_f16_e32 v14, v14, v15
	v_add_f16_e32 v10, v10, v11
	v_fma_f16 v11, v27, s0, v26
	v_add_f16_e32 v122, v122, v123
	v_fma_f16 v15, v30, s1, v29
	v_add_f16_sdwa v11, v28, v11 dst_sel:DWORD dst_unused:UNUSED_PAD src0_sel:WORD_1 src1_sel:DWORD
	v_pack_b32_f16 v0, v14, v0
	v_add_f16_e32 v11, v11, v15
	v_fma_f16 v15, v32, s7, v31
	global_store_dword v[12:13], v0, off
	v_pack_b32_f16 v0, v122, v121
	v_add_f16_e32 v11, v11, v15
	v_fma_f16 v15, v34, s16, v33
	global_store_dword v[12:13], v0, off offset:24
	v_pack_b32_f16 v0, v115, v108
	v_add_f16_e32 v11, v11, v15
	v_fma_f16 v15, v42, s13, v35
	global_store_dword v[12:13], v0, off offset:48
	;; [unrolled: 4-line block ×3, first 2 shown]
	v_pack_b32_f16 v0, v87, v80
	v_add_f16_e32 v11, v11, v15
	v_fma_f16 v15, v46, s6, -v47
	global_store_dword v[12:13], v0, off offset:96
	v_pack_b32_f16 v0, v73, v66
	v_add_f16_e32 v15, v28, v15
	v_fma_f16 v16, v50, s9, -v51
	global_store_dword v[12:13], v0, off offset:120
	;; [unrolled: 4-line block ×6, first 2 shown]
	v_pack_b32_f16 v0, v8, v7
	v_add_f16_e32 v15, v15, v16
	global_store_dword v[12:13], v0, off offset:240
	v_pack_b32_f16 v0, v10, v9
	global_store_dword v[12:13], v0, off offset:264
	v_pack_b32_f16 v0, v15, v11
	global_store_dword v[12:13], v0, off offset:288
	s_endpgm
	.section	.rodata,"a",@progbits
	.p2align	6, 0x0
	.amdhsa_kernel fft_rtc_back_len78_factors_6_13_wgs_247_tpt_13_half_ip_CI_unitstride_sbrr_dirReg
		.amdhsa_group_segment_fixed_size 0
		.amdhsa_private_segment_fixed_size 0
		.amdhsa_kernarg_size 88
		.amdhsa_user_sgpr_count 6
		.amdhsa_user_sgpr_private_segment_buffer 1
		.amdhsa_user_sgpr_dispatch_ptr 0
		.amdhsa_user_sgpr_queue_ptr 0
		.amdhsa_user_sgpr_kernarg_segment_ptr 1
		.amdhsa_user_sgpr_dispatch_id 0
		.amdhsa_user_sgpr_flat_scratch_init 0
		.amdhsa_user_sgpr_private_segment_size 0
		.amdhsa_uses_dynamic_stack 0
		.amdhsa_system_sgpr_private_segment_wavefront_offset 0
		.amdhsa_system_sgpr_workgroup_id_x 1
		.amdhsa_system_sgpr_workgroup_id_y 0
		.amdhsa_system_sgpr_workgroup_id_z 0
		.amdhsa_system_sgpr_workgroup_info 0
		.amdhsa_system_vgpr_workitem_id 0
		.amdhsa_next_free_vgpr 124
		.amdhsa_next_free_sgpr 22
		.amdhsa_reserve_vcc 1
		.amdhsa_reserve_flat_scratch 0
		.amdhsa_float_round_mode_32 0
		.amdhsa_float_round_mode_16_64 0
		.amdhsa_float_denorm_mode_32 3
		.amdhsa_float_denorm_mode_16_64 3
		.amdhsa_dx10_clamp 1
		.amdhsa_ieee_mode 1
		.amdhsa_fp16_overflow 0
		.amdhsa_exception_fp_ieee_invalid_op 0
		.amdhsa_exception_fp_denorm_src 0
		.amdhsa_exception_fp_ieee_div_zero 0
		.amdhsa_exception_fp_ieee_overflow 0
		.amdhsa_exception_fp_ieee_underflow 0
		.amdhsa_exception_fp_ieee_inexact 0
		.amdhsa_exception_int_div_zero 0
	.end_amdhsa_kernel
	.text
.Lfunc_end0:
	.size	fft_rtc_back_len78_factors_6_13_wgs_247_tpt_13_half_ip_CI_unitstride_sbrr_dirReg, .Lfunc_end0-fft_rtc_back_len78_factors_6_13_wgs_247_tpt_13_half_ip_CI_unitstride_sbrr_dirReg
                                        ; -- End function
	.section	.AMDGPU.csdata,"",@progbits
; Kernel info:
; codeLenInByte = 5228
; NumSgprs: 26
; NumVgprs: 124
; ScratchSize: 0
; MemoryBound: 0
; FloatMode: 240
; IeeeMode: 1
; LDSByteSize: 0 bytes/workgroup (compile time only)
; SGPRBlocks: 3
; VGPRBlocks: 30
; NumSGPRsForWavesPerEU: 26
; NumVGPRsForWavesPerEU: 124
; Occupancy: 2
; WaveLimiterHint : 1
; COMPUTE_PGM_RSRC2:SCRATCH_EN: 0
; COMPUTE_PGM_RSRC2:USER_SGPR: 6
; COMPUTE_PGM_RSRC2:TRAP_HANDLER: 0
; COMPUTE_PGM_RSRC2:TGID_X_EN: 1
; COMPUTE_PGM_RSRC2:TGID_Y_EN: 0
; COMPUTE_PGM_RSRC2:TGID_Z_EN: 0
; COMPUTE_PGM_RSRC2:TIDIG_COMP_CNT: 0
	.type	__hip_cuid_6dc259ae2a1a45b1,@object ; @__hip_cuid_6dc259ae2a1a45b1
	.section	.bss,"aw",@nobits
	.globl	__hip_cuid_6dc259ae2a1a45b1
__hip_cuid_6dc259ae2a1a45b1:
	.byte	0                               ; 0x0
	.size	__hip_cuid_6dc259ae2a1a45b1, 1

	.ident	"AMD clang version 19.0.0git (https://github.com/RadeonOpenCompute/llvm-project roc-6.4.0 25133 c7fe45cf4b819c5991fe208aaa96edf142730f1d)"
	.section	".note.GNU-stack","",@progbits
	.addrsig
	.addrsig_sym __hip_cuid_6dc259ae2a1a45b1
	.amdgpu_metadata
---
amdhsa.kernels:
  - .args:
      - .actual_access:  read_only
        .address_space:  global
        .offset:         0
        .size:           8
        .value_kind:     global_buffer
      - .offset:         8
        .size:           8
        .value_kind:     by_value
      - .actual_access:  read_only
        .address_space:  global
        .offset:         16
        .size:           8
        .value_kind:     global_buffer
      - .actual_access:  read_only
        .address_space:  global
        .offset:         24
        .size:           8
        .value_kind:     global_buffer
      - .offset:         32
        .size:           8
        .value_kind:     by_value
      - .actual_access:  read_only
        .address_space:  global
        .offset:         40
        .size:           8
        .value_kind:     global_buffer
      - .actual_access:  read_only
        .address_space:  global
        .offset:         48
        .size:           8
        .value_kind:     global_buffer
      - .offset:         56
        .size:           4
        .value_kind:     by_value
      - .actual_access:  read_only
        .address_space:  global
        .offset:         64
        .size:           8
        .value_kind:     global_buffer
      - .actual_access:  read_only
        .address_space:  global
        .offset:         72
        .size:           8
        .value_kind:     global_buffer
      - .address_space:  global
        .offset:         80
        .size:           8
        .value_kind:     global_buffer
    .group_segment_fixed_size: 0
    .kernarg_segment_align: 8
    .kernarg_segment_size: 88
    .language:       OpenCL C
    .language_version:
      - 2
      - 0
    .max_flat_workgroup_size: 247
    .name:           fft_rtc_back_len78_factors_6_13_wgs_247_tpt_13_half_ip_CI_unitstride_sbrr_dirReg
    .private_segment_fixed_size: 0
    .sgpr_count:     26
    .sgpr_spill_count: 0
    .symbol:         fft_rtc_back_len78_factors_6_13_wgs_247_tpt_13_half_ip_CI_unitstride_sbrr_dirReg.kd
    .uniform_work_group_size: 1
    .uses_dynamic_stack: false
    .vgpr_count:     124
    .vgpr_spill_count: 0
    .wavefront_size: 64
amdhsa.target:   amdgcn-amd-amdhsa--gfx906
amdhsa.version:
  - 1
  - 2
...

	.end_amdgpu_metadata
